;; amdgpu-corpus repo=ROCm/rocFFT kind=compiled arch=gfx1201 opt=O3
	.text
	.amdgcn_target "amdgcn-amd-amdhsa--gfx1201"
	.amdhsa_code_object_version 6
	.protected	fft_rtc_back_len128_factors_16_8_wgs_256_tpt_16_dp_ip_CI_sbcc_twdbase6_3step_dirReg_intrinsicRead ; -- Begin function fft_rtc_back_len128_factors_16_8_wgs_256_tpt_16_dp_ip_CI_sbcc_twdbase6_3step_dirReg_intrinsicRead
	.globl	fft_rtc_back_len128_factors_16_8_wgs_256_tpt_16_dp_ip_CI_sbcc_twdbase6_3step_dirReg_intrinsicRead
	.p2align	8
	.type	fft_rtc_back_len128_factors_16_8_wgs_256_tpt_16_dp_ip_CI_sbcc_twdbase6_3step_dirReg_intrinsicRead,@function
fft_rtc_back_len128_factors_16_8_wgs_256_tpt_16_dp_ip_CI_sbcc_twdbase6_3step_dirReg_intrinsicRead: ; @fft_rtc_back_len128_factors_16_8_wgs_256_tpt_16_dp_ip_CI_sbcc_twdbase6_3step_dirReg_intrinsicRead
; %bb.0:
	s_load_b256 s[4:11], s[0:1], 0x8
	s_mov_b32 s18, ttmp9
	s_mov_b32 s2, exec_lo
	v_cmpx_gt_u32_e32 0xc0, v0
	s_cbranch_execz .LBB0_2
; %bb.1:
	v_lshlrev_b32_e32 v5, 4, v0
	s_wait_kmcnt 0x0
	global_load_b128 v[1:4], v5, s[4:5]
	v_add3_u32 v5, 0, v5, 0x8000
	s_wait_loadcnt 0x0
	ds_store_2addr_b64 v5, v[1:2], v[3:4] offset1:1
.LBB0_2:
	s_or_b32 exec_lo, exec_lo, s2
	s_wait_kmcnt 0x0
	s_load_b64 s[4:5], s[8:9], 0x8
	s_mov_b32 s19, 0
	s_mov_b64 s[24:25], 0
	s_wait_kmcnt 0x0
	s_add_nc_u64 s[2:3], s[4:5], -1
	s_delay_alu instid0(SALU_CYCLE_1) | instskip(NEXT) | instid1(SALU_CYCLE_1)
	s_lshr_b64 s[2:3], s[2:3], 4
	s_add_nc_u64 s[22:23], s[2:3], 1
	s_delay_alu instid0(SALU_CYCLE_1) | instskip(NEXT) | instid1(VALU_DEP_1)
	v_cmp_lt_u64_e64 s2, s[18:19], s[22:23]
	s_and_b32 vcc_lo, exec_lo, s2
	s_cbranch_vccnz .LBB0_4
; %bb.3:
	v_cvt_f32_u32_e32 v1, s22
	s_sub_co_i32 s3, 0, s22
	s_mov_b32 s25, s19
	s_delay_alu instid0(VALU_DEP_1) | instskip(NEXT) | instid1(TRANS32_DEP_1)
	v_rcp_iflag_f32_e32 v1, v1
	v_mul_f32_e32 v1, 0x4f7ffffe, v1
	s_delay_alu instid0(VALU_DEP_1) | instskip(NEXT) | instid1(VALU_DEP_1)
	v_cvt_u32_f32_e32 v1, v1
	v_readfirstlane_b32 s2, v1
	s_delay_alu instid0(VALU_DEP_1) | instskip(NEXT) | instid1(SALU_CYCLE_1)
	s_mul_i32 s3, s3, s2
	s_mul_hi_u32 s3, s2, s3
	s_delay_alu instid0(SALU_CYCLE_1) | instskip(NEXT) | instid1(SALU_CYCLE_1)
	s_add_co_i32 s2, s2, s3
	s_mul_hi_u32 s2, s18, s2
	s_delay_alu instid0(SALU_CYCLE_1) | instskip(SKIP_2) | instid1(SALU_CYCLE_1)
	s_mul_i32 s3, s2, s22
	s_add_co_i32 s12, s2, 1
	s_sub_co_i32 s3, s18, s3
	s_sub_co_i32 s13, s3, s22
	s_cmp_ge_u32 s3, s22
	s_cselect_b32 s2, s12, s2
	s_cselect_b32 s3, s13, s3
	s_add_co_i32 s12, s2, 1
	s_cmp_ge_u32 s3, s22
	s_cselect_b32 s24, s12, s2
.LBB0_4:
	s_load_b128 s[12:15], s[10:11], 0x0
	s_clause 0x1
	s_load_b64 s[2:3], s[0:1], 0x58
	s_load_b64 s[16:17], s[0:1], 0x0
	v_cmp_lt_u64_e64 s20, s[6:7], 3
	s_mul_u64 s[0:1], s[24:25], s[22:23]
	s_delay_alu instid0(SALU_CYCLE_1) | instskip(NEXT) | instid1(SALU_CYCLE_1)
	s_sub_nc_u64 s[0:1], s[18:19], s[0:1]
	s_lshl_b64 s[0:1], s[0:1], 4
	s_delay_alu instid0(VALU_DEP_1)
	s_and_b32 vcc_lo, exec_lo, s20
	s_wait_kmcnt 0x0
	s_mul_u64 s[20:21], s[14:15], s[0:1]
	s_cbranch_vccnz .LBB0_14
; %bb.5:
	s_add_nc_u64 s[26:27], s[10:11], 16
	s_add_nc_u64 s[8:9], s[8:9], 16
	s_mov_b64 s[28:29], 2
	s_mov_b32 s30, 0
.LBB0_6:                                ; =>This Inner Loop Header: Depth=1
	s_load_b64 s[34:35], s[8:9], 0x0
                                        ; implicit-def: $sgpr38_sgpr39
	s_wait_kmcnt 0x0
	s_or_b64 s[36:37], s[24:25], s[34:35]
	s_delay_alu instid0(SALU_CYCLE_1)
	s_mov_b32 s31, s37
	s_mov_b32 s37, -1
	s_wait_alu 0xfffe
	s_cmp_lg_u64 s[30:31], 0
	s_cbranch_scc0 .LBB0_8
; %bb.7:                                ;   in Loop: Header=BB0_6 Depth=1
	s_cvt_f32_u32 s31, s34
	s_cvt_f32_u32 s33, s35
	s_sub_nc_u64 s[40:41], 0, s[34:35]
	s_mov_b32 s37, 0
	s_mov_b32 s45, s30
	s_wait_alu 0xfffe
	s_fmamk_f32 s31, s33, 0x4f800000, s31
	s_wait_alu 0xfffe
	s_delay_alu instid0(SALU_CYCLE_2) | instskip(NEXT) | instid1(TRANS32_DEP_1)
	v_s_rcp_f32 s31, s31
	s_mul_f32 s31, s31, 0x5f7ffffc
	s_wait_alu 0xfffe
	s_delay_alu instid0(SALU_CYCLE_2) | instskip(NEXT) | instid1(SALU_CYCLE_3)
	s_mul_f32 s33, s31, 0x2f800000
	s_trunc_f32 s33, s33
	s_delay_alu instid0(SALU_CYCLE_3) | instskip(SKIP_2) | instid1(SALU_CYCLE_1)
	s_fmamk_f32 s31, s33, 0xcf800000, s31
	s_cvt_u32_f32 s39, s33
	s_wait_alu 0xfffe
	s_cvt_u32_f32 s38, s31
	s_wait_alu 0xfffe
	s_delay_alu instid0(SALU_CYCLE_2)
	s_mul_u64 s[42:43], s[40:41], s[38:39]
	s_wait_alu 0xfffe
	s_mul_hi_u32 s47, s38, s43
	s_mul_i32 s46, s38, s43
	s_mul_hi_u32 s36, s38, s42
	s_mul_i32 s33, s39, s42
	s_add_nc_u64 s[46:47], s[36:37], s[46:47]
	s_mul_hi_u32 s31, s39, s42
	s_mul_hi_u32 s48, s39, s43
	s_add_co_u32 s33, s46, s33
	s_wait_alu 0xfffe
	s_add_co_ci_u32 s44, s47, s31
	s_mul_i32 s42, s39, s43
	s_add_co_ci_u32 s43, s48, 0
	s_wait_alu 0xfffe
	s_add_nc_u64 s[42:43], s[44:45], s[42:43]
	s_wait_alu 0xfffe
	v_add_co_u32 v1, s31, s38, s42
	s_delay_alu instid0(VALU_DEP_1) | instskip(SKIP_1) | instid1(VALU_DEP_1)
	s_cmp_lg_u32 s31, 0
	s_add_co_ci_u32 s39, s39, s43
	v_readfirstlane_b32 s38, v1
	s_mov_b32 s43, s30
	s_wait_alu 0xfffe
	s_delay_alu instid0(VALU_DEP_1)
	s_mul_u64 s[40:41], s[40:41], s[38:39]
	s_wait_alu 0xfffe
	s_mul_hi_u32 s45, s38, s41
	s_mul_i32 s44, s38, s41
	s_mul_hi_u32 s36, s38, s40
	s_mul_i32 s33, s39, s40
	s_add_nc_u64 s[44:45], s[36:37], s[44:45]
	s_mul_hi_u32 s31, s39, s40
	s_mul_hi_u32 s38, s39, s41
	s_add_co_u32 s33, s44, s33
	s_wait_alu 0xfffe
	s_add_co_ci_u32 s42, s45, s31
	s_mul_i32 s40, s39, s41
	s_add_co_ci_u32 s41, s38, 0
	s_wait_alu 0xfffe
	s_add_nc_u64 s[40:41], s[42:43], s[40:41]
	s_wait_alu 0xfffe
	v_add_co_u32 v1, s31, v1, s40
	s_delay_alu instid0(VALU_DEP_1) | instskip(SKIP_1) | instid1(VALU_DEP_1)
	s_cmp_lg_u32 s31, 0
	s_add_co_ci_u32 s31, s39, s41
	v_readfirstlane_b32 s33, v1
	s_wait_alu 0xfffe
	s_mul_hi_u32 s39, s24, s31
	s_mul_i32 s38, s24, s31
	s_mul_hi_u32 s41, s25, s31
	s_mul_i32 s40, s25, s31
	;; [unrolled: 2-line block ×3, first 2 shown]
	s_wait_alu 0xfffe
	s_add_nc_u64 s[38:39], s[36:37], s[38:39]
	s_mul_hi_u32 s33, s25, s33
	s_wait_alu 0xfffe
	s_add_co_u32 s31, s38, s31
	s_add_co_ci_u32 s42, s39, s33
	s_add_co_ci_u32 s41, s41, 0
	s_wait_alu 0xfffe
	s_add_nc_u64 s[38:39], s[42:43], s[40:41]
	s_wait_alu 0xfffe
	s_mul_u64 s[40:41], s[34:35], s[38:39]
	s_add_nc_u64 s[42:43], s[38:39], 1
	s_wait_alu 0xfffe
	v_sub_co_u32 v1, s31, s24, s40
	s_sub_co_i32 s33, s25, s41
	s_cmp_lg_u32 s31, 0
	s_add_nc_u64 s[44:45], s[38:39], 2
	s_delay_alu instid0(VALU_DEP_1) | instskip(SKIP_2) | instid1(VALU_DEP_1)
	v_sub_co_u32 v2, s36, v1, s34
	s_sub_co_ci_u32 s33, s33, s35
	s_cmp_lg_u32 s36, 0
	v_readfirstlane_b32 s36, v2
	s_sub_co_ci_u32 s33, s33, 0
	s_delay_alu instid0(SALU_CYCLE_1) | instskip(SKIP_1) | instid1(VALU_DEP_1)
	s_cmp_ge_u32 s33, s35
	s_cselect_b32 s40, -1, 0
	s_cmp_ge_u32 s36, s34
	s_cselect_b32 s36, -1, 0
	s_cmp_eq_u32 s33, s35
	s_wait_alu 0xfffe
	s_cselect_b32 s33, s36, s40
	s_delay_alu instid0(SALU_CYCLE_1)
	s_cmp_lg_u32 s33, 0
	s_cselect_b32 s33, s44, s42
	s_cselect_b32 s36, s45, s43
	s_cmp_lg_u32 s31, 0
	v_readfirstlane_b32 s31, v1
	s_sub_co_ci_u32 s40, s25, s41
	s_wait_alu 0xfffe
	s_cmp_ge_u32 s40, s35
	s_cselect_b32 s41, -1, 0
	s_cmp_ge_u32 s31, s34
	s_cselect_b32 s31, -1, 0
	s_cmp_eq_u32 s40, s35
	s_wait_alu 0xfffe
	s_cselect_b32 s31, s31, s41
	s_wait_alu 0xfffe
	s_cmp_lg_u32 s31, 0
	s_cselect_b32 s39, s36, s39
	s_cselect_b32 s38, s33, s38
.LBB0_8:                                ;   in Loop: Header=BB0_6 Depth=1
	s_and_not1_b32 vcc_lo, exec_lo, s37
	s_cbranch_vccnz .LBB0_10
; %bb.9:                                ;   in Loop: Header=BB0_6 Depth=1
	v_cvt_f32_u32_e32 v1, s34
	s_sub_co_i32 s33, 0, s34
	s_mov_b32 s39, s30
	s_delay_alu instid0(VALU_DEP_1) | instskip(NEXT) | instid1(TRANS32_DEP_1)
	v_rcp_iflag_f32_e32 v1, v1
	v_mul_f32_e32 v1, 0x4f7ffffe, v1
	s_delay_alu instid0(VALU_DEP_1) | instskip(NEXT) | instid1(VALU_DEP_1)
	v_cvt_u32_f32_e32 v1, v1
	v_readfirstlane_b32 s31, v1
	s_delay_alu instid0(VALU_DEP_1) | instskip(NEXT) | instid1(SALU_CYCLE_1)
	s_mul_i32 s33, s33, s31
	s_mul_hi_u32 s33, s31, s33
	s_delay_alu instid0(SALU_CYCLE_1)
	s_add_co_i32 s31, s31, s33
	s_wait_alu 0xfffe
	s_mul_hi_u32 s31, s24, s31
	s_wait_alu 0xfffe
	s_mul_i32 s33, s31, s34
	s_add_co_i32 s36, s31, 1
	s_sub_co_i32 s33, s24, s33
	s_delay_alu instid0(SALU_CYCLE_1)
	s_sub_co_i32 s37, s33, s34
	s_cmp_ge_u32 s33, s34
	s_cselect_b32 s31, s36, s31
	s_cselect_b32 s33, s37, s33
	s_wait_alu 0xfffe
	s_add_co_i32 s36, s31, 1
	s_cmp_ge_u32 s33, s34
	s_cselect_b32 s38, s36, s31
.LBB0_10:                               ;   in Loop: Header=BB0_6 Depth=1
	s_load_b64 s[36:37], s[26:27], 0x0
	s_add_nc_u64 s[28:29], s[28:29], 1
	s_mul_u64 s[22:23], s[34:35], s[22:23]
	s_wait_alu 0xfffe
	v_cmp_ge_u64_e64 s31, s[28:29], s[6:7]
	s_mul_u64 s[34:35], s[38:39], s[34:35]
	s_add_nc_u64 s[26:27], s[26:27], 8
	s_wait_alu 0xfffe
	s_sub_nc_u64 s[24:25], s[24:25], s[34:35]
	s_add_nc_u64 s[8:9], s[8:9], 8
	s_and_b32 vcc_lo, exec_lo, s31
	s_wait_kmcnt 0x0
	s_wait_alu 0xfffe
	s_mul_u64 s[24:25], s[36:37], s[24:25]
	s_wait_alu 0xfffe
	s_add_nc_u64 s[20:21], s[24:25], s[20:21]
	s_cbranch_vccnz .LBB0_12
; %bb.11:                               ;   in Loop: Header=BB0_6 Depth=1
	s_mov_b64 s[24:25], s[38:39]
	s_branch .LBB0_6
.LBB0_12:
	v_cmp_lt_u64_e64 s8, s[18:19], s[22:23]
	s_mov_b64 s[24:25], 0
	s_delay_alu instid0(VALU_DEP_1)
	s_and_b32 vcc_lo, exec_lo, s8
	s_cbranch_vccnz .LBB0_14
; %bb.13:
	v_cvt_f32_u32_e32 v1, s22
	s_sub_co_i32 s9, 0, s22
	s_mov_b32 s25, 0
	s_delay_alu instid0(VALU_DEP_1) | instskip(NEXT) | instid1(TRANS32_DEP_1)
	v_rcp_iflag_f32_e32 v1, v1
	v_mul_f32_e32 v1, 0x4f7ffffe, v1
	s_delay_alu instid0(VALU_DEP_1) | instskip(NEXT) | instid1(VALU_DEP_1)
	v_cvt_u32_f32_e32 v1, v1
	v_readfirstlane_b32 s8, v1
	s_delay_alu instid0(VALU_DEP_1) | instskip(NEXT) | instid1(SALU_CYCLE_1)
	s_mul_i32 s9, s9, s8
	s_mul_hi_u32 s9, s8, s9
	s_delay_alu instid0(SALU_CYCLE_1) | instskip(NEXT) | instid1(SALU_CYCLE_1)
	s_add_co_i32 s8, s8, s9
	s_mul_hi_u32 s8, s18, s8
	s_delay_alu instid0(SALU_CYCLE_1) | instskip(NEXT) | instid1(SALU_CYCLE_1)
	s_mul_i32 s9, s8, s22
	s_sub_co_i32 s9, s18, s9
	s_add_co_i32 s18, s8, 1
	s_sub_co_i32 s19, s9, s22
	s_cmp_ge_u32 s9, s22
	s_wait_alu 0xfffe
	s_cselect_b32 s8, s18, s8
	s_cselect_b32 s9, s19, s9
	s_add_co_i32 s18, s8, 1
	s_cmp_ge_u32 s9, s22
	s_wait_alu 0xfffe
	s_cselect_b32 s24, s18, s8
.LBB0_14:
	v_and_b32_e32 v72, 15, v0
	v_dual_mov_b32 v68, s1 :: v_dual_mov_b32 v7, 0
	v_cmp_gt_u32_e32 vcc_lo, 0x80, v0
	s_lshl_b64 s[6:7], s[6:7], 3
	s_delay_alu instid0(VALU_DEP_3) | instskip(SKIP_4) | instid1(VALU_DEP_2)
	v_mad_co_u64_u32 v[65:66], null, s14, v72, 0
	s_wait_alu 0xfffe
	s_add_nc_u64 s[6:7], s[10:11], s[6:7]
	v_cndmask_b32_e64 v2, 0, 1, vcc_lo
	s_load_b64 s[6:7], s[6:7], 0x0
	v_dual_mov_b32 v8, 0 :: v_dual_mov_b32 v1, v66
	v_or_b32_e32 v67, s0, v72
	s_add_nc_u64 s[0:1], s[0:1], 16
	s_wait_alu 0xfffe
	v_cmp_le_u64_e64 s8, s[0:1], s[4:5]
	v_cmp_lt_u32_e64 s0, 0x7f, v0
	v_cmp_gt_u64_e32 vcc_lo, s[4:5], v[67:68]
	v_lshrrev_b32_e32 v68, 4, v0
	s_delay_alu instid0(VALU_DEP_3)
	s_or_b32 s0, s0, s8
	s_wait_alu 0xfffd
	v_cndmask_b32_e64 v3, 0, 1, vcc_lo
	s_wait_kmcnt 0x0
	s_mul_u64 s[4:5], s[6:7], s[24:25]
	s_wait_alu 0xfffe
	s_delay_alu instid0(VALU_DEP_1) | instskip(SKIP_2) | instid1(VALU_DEP_2)
	v_cndmask_b32_e64 v3, v3, v2, s0
	v_mad_co_u64_u32 v[1:2], null, s15, v72, v[1:2]
	s_add_nc_u64 s[4:5], s[4:5], s[20:21]
	v_dual_mov_b32 v3, v7 :: v_dual_and_b32 v2, 1, v3
	v_mov_b32_e32 v4, v8
	s_delay_alu instid0(VALU_DEP_3) | instskip(NEXT) | instid1(VALU_DEP_3)
	v_mov_b32_e32 v66, v1
	v_cmp_eq_u32_e64 s0, 1, v2
	v_dual_mov_b32 v1, v7 :: v_dual_mov_b32 v2, v8
	s_delay_alu instid0(VALU_DEP_2)
	s_and_saveexec_b32 s6, s0
	s_cbranch_execz .LBB0_16
; %bb.15:
	v_mul_lo_u32 v1, s12, v68
	v_mov_b32_e32 v2, 0
	s_wait_alu 0xfffe
	s_delay_alu instid0(VALU_DEP_2) | instskip(NEXT) | instid1(VALU_DEP_1)
	v_add3_u32 v1, s4, v65, v1
	v_lshlrev_b64_e32 v[1:2], 4, v[1:2]
	s_delay_alu instid0(VALU_DEP_1) | instskip(SKIP_1) | instid1(VALU_DEP_2)
	v_add_co_u32 v1, s1, s2, v1
	s_wait_alu 0xf1ff
	v_add_co_ci_u32_e64 v2, s1, s3, v2, s1
	global_load_b128 v[1:4], v[1:2], off
.LBB0_16:
	s_wait_alu 0xfffe
	s_or_b32 exec_lo, exec_lo, s6
	v_dual_mov_b32 v5, v7 :: v_dual_mov_b32 v6, v8
	s_and_saveexec_b32 s6, s0
	s_cbranch_execz .LBB0_18
; %bb.17:
	v_dual_mov_b32 v6, 0 :: v_dual_add_nc_u32 v5, 8, v68
	s_delay_alu instid0(VALU_DEP_1) | instskip(NEXT) | instid1(VALU_DEP_1)
	v_mul_lo_u32 v5, s12, v5
	v_add3_u32 v5, s4, v65, v5
	s_delay_alu instid0(VALU_DEP_1) | instskip(NEXT) | instid1(VALU_DEP_1)
	v_lshlrev_b64_e32 v[5:6], 4, v[5:6]
	v_add_co_u32 v5, s1, s2, v5
	s_wait_alu 0xf1ff
	s_delay_alu instid0(VALU_DEP_2)
	v_add_co_ci_u32_e64 v6, s1, s3, v6, s1
	global_load_b128 v[5:8], v[5:6], off
.LBB0_18:
	s_wait_alu 0xfffe
	s_or_b32 exec_lo, exec_lo, s6
	v_mov_b32_e32 v11, 0
	v_mov_b32_e32 v12, 0
	s_delay_alu instid0(VALU_DEP_1)
	v_dual_mov_b32 v16, v12 :: v_dual_mov_b32 v15, v11
	v_dual_mov_b32 v14, v12 :: v_dual_mov_b32 v13, v11
	s_and_saveexec_b32 s6, s0
	s_cbranch_execz .LBB0_20
; %bb.19:
	v_or_b32_e32 v9, 16, v68
	v_mov_b32_e32 v10, 0
	s_delay_alu instid0(VALU_DEP_2) | instskip(NEXT) | instid1(VALU_DEP_1)
	v_mul_lo_u32 v9, s12, v9
	v_add3_u32 v9, s4, v65, v9
	s_delay_alu instid0(VALU_DEP_1) | instskip(NEXT) | instid1(VALU_DEP_1)
	v_lshlrev_b64_e32 v[9:10], 4, v[9:10]
	v_add_co_u32 v9, s1, s2, v9
	s_wait_alu 0xf1ff
	s_delay_alu instid0(VALU_DEP_2)
	v_add_co_ci_u32_e64 v10, s1, s3, v10, s1
	global_load_b128 v[13:16], v[9:10], off
.LBB0_20:
	s_wait_alu 0xfffe
	s_or_b32 exec_lo, exec_lo, s6
	v_dual_mov_b32 v9, v11 :: v_dual_mov_b32 v10, v12
	s_and_saveexec_b32 s6, s0
	s_cbranch_execz .LBB0_22
; %bb.21:
	v_dual_mov_b32 v10, 0 :: v_dual_add_nc_u32 v9, 24, v68
	s_delay_alu instid0(VALU_DEP_1) | instskip(NEXT) | instid1(VALU_DEP_1)
	v_mul_lo_u32 v9, s12, v9
	v_add3_u32 v9, s4, v65, v9
	s_delay_alu instid0(VALU_DEP_1) | instskip(NEXT) | instid1(VALU_DEP_1)
	v_lshlrev_b64_e32 v[9:10], 4, v[9:10]
	v_add_co_u32 v9, s1, s2, v9
	s_wait_alu 0xf1ff
	s_delay_alu instid0(VALU_DEP_2)
	v_add_co_ci_u32_e64 v10, s1, s3, v10, s1
	global_load_b128 v[9:12], v[9:10], off
.LBB0_22:
	s_wait_alu 0xfffe
	s_or_b32 exec_lo, exec_lo, s6
	v_mov_b32_e32 v23, 0
	v_mov_b32_e32 v24, 0
	s_delay_alu instid0(VALU_DEP_2) | instskip(NEXT) | instid1(VALU_DEP_2)
	v_mov_b32_e32 v19, v23
	v_dual_mov_b32 v17, v23 :: v_dual_mov_b32 v18, v24
	v_mov_b32_e32 v20, v24
	s_and_saveexec_b32 s6, s0
	s_cbranch_execz .LBB0_24
; %bb.23:
	v_or_b32_e32 v17, 32, v68
	v_mov_b32_e32 v18, 0
	s_delay_alu instid0(VALU_DEP_2) | instskip(NEXT) | instid1(VALU_DEP_1)
	v_mul_lo_u32 v17, s12, v17
	v_add3_u32 v17, s4, v65, v17
	s_delay_alu instid0(VALU_DEP_1) | instskip(NEXT) | instid1(VALU_DEP_1)
	v_lshlrev_b64_e32 v[17:18], 4, v[17:18]
	v_add_co_u32 v17, s1, s2, v17
	s_wait_alu 0xf1ff
	s_delay_alu instid0(VALU_DEP_2)
	v_add_co_ci_u32_e64 v18, s1, s3, v18, s1
	global_load_b128 v[17:20], v[17:18], off
.LBB0_24:
	s_wait_alu 0xfffe
	s_or_b32 exec_lo, exec_lo, s6
	v_dual_mov_b32 v21, v23 :: v_dual_mov_b32 v22, v24
	s_and_saveexec_b32 s6, s0
	s_cbranch_execz .LBB0_26
; %bb.25:
	v_dual_mov_b32 v22, 0 :: v_dual_add_nc_u32 v21, 40, v68
	s_delay_alu instid0(VALU_DEP_1) | instskip(NEXT) | instid1(VALU_DEP_1)
	v_mul_lo_u32 v21, s12, v21
	v_add3_u32 v21, s4, v65, v21
	s_delay_alu instid0(VALU_DEP_1) | instskip(NEXT) | instid1(VALU_DEP_1)
	v_lshlrev_b64_e32 v[21:22], 4, v[21:22]
	v_add_co_u32 v21, s1, s2, v21
	s_wait_alu 0xf1ff
	s_delay_alu instid0(VALU_DEP_2)
	v_add_co_ci_u32_e64 v22, s1, s3, v22, s1
	global_load_b128 v[21:24], v[21:22], off
.LBB0_26:
	s_wait_alu 0xfffe
	s_or_b32 exec_lo, exec_lo, s6
	v_mov_b32_e32 v27, 0
	v_mov_b32_e32 v28, 0
	v_or_b32_e32 v69, 48, v68
	s_delay_alu instid0(VALU_DEP_2)
	v_dual_mov_b32 v32, v28 :: v_dual_mov_b32 v31, v27
	v_dual_mov_b32 v30, v28 :: v_dual_mov_b32 v29, v27
	s_and_saveexec_b32 s6, s0
	s_cbranch_execz .LBB0_28
; %bb.27:
	v_mul_lo_u32 v25, s12, v69
	v_mov_b32_e32 v26, 0
	s_delay_alu instid0(VALU_DEP_2) | instskip(NEXT) | instid1(VALU_DEP_1)
	v_add3_u32 v25, s4, v65, v25
	v_lshlrev_b64_e32 v[25:26], 4, v[25:26]
	s_delay_alu instid0(VALU_DEP_1) | instskip(SKIP_1) | instid1(VALU_DEP_2)
	v_add_co_u32 v25, s1, s2, v25
	s_wait_alu 0xf1ff
	v_add_co_ci_u32_e64 v26, s1, s3, v26, s1
	global_load_b128 v[29:32], v[25:26], off
.LBB0_28:
	s_wait_alu 0xfffe
	s_or_b32 exec_lo, exec_lo, s6
	v_dual_mov_b32 v25, v27 :: v_dual_mov_b32 v26, v28
	s_and_saveexec_b32 s6, s0
	s_cbranch_execz .LBB0_30
; %bb.29:
	v_dual_mov_b32 v26, 0 :: v_dual_add_nc_u32 v25, 56, v68
	s_delay_alu instid0(VALU_DEP_1) | instskip(NEXT) | instid1(VALU_DEP_1)
	v_mul_lo_u32 v25, s12, v25
	v_add3_u32 v25, s4, v65, v25
	s_delay_alu instid0(VALU_DEP_1) | instskip(NEXT) | instid1(VALU_DEP_1)
	v_lshlrev_b64_e32 v[25:26], 4, v[25:26]
	v_add_co_u32 v25, s1, s2, v25
	s_wait_alu 0xf1ff
	s_delay_alu instid0(VALU_DEP_2)
	v_add_co_ci_u32_e64 v26, s1, s3, v26, s1
	global_load_b128 v[25:28], v[25:26], off
.LBB0_30:
	s_wait_alu 0xfffe
	s_or_b32 exec_lo, exec_lo, s6
	v_mov_b32_e32 v39, 0
	v_mov_b32_e32 v40, 0
	s_delay_alu instid0(VALU_DEP_2) | instskip(NEXT) | instid1(VALU_DEP_2)
	v_mov_b32_e32 v35, v39
	v_dual_mov_b32 v33, v39 :: v_dual_mov_b32 v34, v40
	v_mov_b32_e32 v36, v40
	s_and_saveexec_b32 s6, s0
	s_cbranch_execz .LBB0_32
; %bb.31:
	v_or_b32_e32 v33, 64, v68
	v_mov_b32_e32 v34, 0
	s_delay_alu instid0(VALU_DEP_2) | instskip(NEXT) | instid1(VALU_DEP_1)
	v_mul_lo_u32 v33, s12, v33
	v_add3_u32 v33, s4, v65, v33
	s_delay_alu instid0(VALU_DEP_1) | instskip(NEXT) | instid1(VALU_DEP_1)
	v_lshlrev_b64_e32 v[33:34], 4, v[33:34]
	v_add_co_u32 v33, s1, s2, v33
	s_wait_alu 0xf1ff
	s_delay_alu instid0(VALU_DEP_2)
	v_add_co_ci_u32_e64 v34, s1, s3, v34, s1
	global_load_b128 v[33:36], v[33:34], off
.LBB0_32:
	s_wait_alu 0xfffe
	s_or_b32 exec_lo, exec_lo, s6
	v_dual_mov_b32 v37, v39 :: v_dual_mov_b32 v38, v40
	s_and_saveexec_b32 s6, s0
	s_cbranch_execz .LBB0_34
; %bb.33:
	v_dual_mov_b32 v38, 0 :: v_dual_add_nc_u32 v37, 0x48, v68
	s_delay_alu instid0(VALU_DEP_1) | instskip(NEXT) | instid1(VALU_DEP_1)
	v_mul_lo_u32 v37, s12, v37
	v_add3_u32 v37, s4, v65, v37
	s_delay_alu instid0(VALU_DEP_1) | instskip(NEXT) | instid1(VALU_DEP_1)
	v_lshlrev_b64_e32 v[37:38], 4, v[37:38]
	v_add_co_u32 v37, s1, s2, v37
	s_wait_alu 0xf1ff
	s_delay_alu instid0(VALU_DEP_2)
	v_add_co_ci_u32_e64 v38, s1, s3, v38, s1
	global_load_b128 v[37:40], v[37:38], off
.LBB0_34:
	s_wait_alu 0xfffe
	s_or_b32 exec_lo, exec_lo, s6
	v_mov_b32_e32 v43, 0
	v_mov_b32_e32 v44, 0
	s_delay_alu instid0(VALU_DEP_1)
	v_dual_mov_b32 v48, v44 :: v_dual_mov_b32 v47, v43
	v_dual_mov_b32 v46, v44 :: v_dual_mov_b32 v45, v43
	s_and_saveexec_b32 s6, s0
	s_cbranch_execz .LBB0_36
; %bb.35:
	v_or_b32_e32 v41, 0x50, v68
	v_mov_b32_e32 v42, 0
	s_delay_alu instid0(VALU_DEP_2) | instskip(NEXT) | instid1(VALU_DEP_1)
	v_mul_lo_u32 v41, s12, v41
	v_add3_u32 v41, s4, v65, v41
	s_delay_alu instid0(VALU_DEP_1) | instskip(NEXT) | instid1(VALU_DEP_1)
	v_lshlrev_b64_e32 v[41:42], 4, v[41:42]
	v_add_co_u32 v41, s1, s2, v41
	s_wait_alu 0xf1ff
	s_delay_alu instid0(VALU_DEP_2)
	v_add_co_ci_u32_e64 v42, s1, s3, v42, s1
	global_load_b128 v[45:48], v[41:42], off
.LBB0_36:
	s_wait_alu 0xfffe
	s_or_b32 exec_lo, exec_lo, s6
	v_dual_mov_b32 v41, v43 :: v_dual_mov_b32 v42, v44
	s_and_saveexec_b32 s6, s0
	s_cbranch_execz .LBB0_38
; %bb.37:
	v_dual_mov_b32 v42, 0 :: v_dual_add_nc_u32 v41, 0x58, v68
	s_delay_alu instid0(VALU_DEP_1) | instskip(NEXT) | instid1(VALU_DEP_1)
	v_mul_lo_u32 v41, s12, v41
	v_add3_u32 v41, s4, v65, v41
	s_delay_alu instid0(VALU_DEP_1) | instskip(NEXT) | instid1(VALU_DEP_1)
	v_lshlrev_b64_e32 v[41:42], 4, v[41:42]
	v_add_co_u32 v41, s1, s2, v41
	s_wait_alu 0xf1ff
	s_delay_alu instid0(VALU_DEP_2)
	v_add_co_ci_u32_e64 v42, s1, s3, v42, s1
	global_load_b128 v[41:44], v[41:42], off
.LBB0_38:
	s_wait_alu 0xfffe
	s_or_b32 exec_lo, exec_lo, s6
	v_mov_b32_e32 v55, 0
	v_mov_b32_e32 v56, 0
	s_delay_alu instid0(VALU_DEP_2) | instskip(NEXT) | instid1(VALU_DEP_2)
	v_mov_b32_e32 v51, v55
	v_dual_mov_b32 v49, v55 :: v_dual_mov_b32 v50, v56
	v_mov_b32_e32 v52, v56
	s_and_saveexec_b32 s6, s0
	s_cbranch_execz .LBB0_40
; %bb.39:
	v_or_b32_e32 v49, 0x60, v68
	v_mov_b32_e32 v50, 0
	s_delay_alu instid0(VALU_DEP_2) | instskip(NEXT) | instid1(VALU_DEP_1)
	v_mul_lo_u32 v49, s12, v49
	v_add3_u32 v49, s4, v65, v49
	s_delay_alu instid0(VALU_DEP_1) | instskip(NEXT) | instid1(VALU_DEP_1)
	v_lshlrev_b64_e32 v[49:50], 4, v[49:50]
	v_add_co_u32 v49, s1, s2, v49
	s_wait_alu 0xf1ff
	s_delay_alu instid0(VALU_DEP_2)
	v_add_co_ci_u32_e64 v50, s1, s3, v50, s1
	global_load_b128 v[49:52], v[49:50], off
.LBB0_40:
	s_wait_alu 0xfffe
	s_or_b32 exec_lo, exec_lo, s6
	v_dual_mov_b32 v53, v55 :: v_dual_mov_b32 v54, v56
	s_and_saveexec_b32 s6, s0
	s_cbranch_execz .LBB0_42
; %bb.41:
	v_dual_mov_b32 v54, 0 :: v_dual_add_nc_u32 v53, 0x68, v68
	s_delay_alu instid0(VALU_DEP_1) | instskip(NEXT) | instid1(VALU_DEP_1)
	v_mul_lo_u32 v53, s12, v53
	v_add3_u32 v53, s4, v65, v53
	s_delay_alu instid0(VALU_DEP_1) | instskip(NEXT) | instid1(VALU_DEP_1)
	v_lshlrev_b64_e32 v[53:54], 4, v[53:54]
	v_add_co_u32 v53, s1, s2, v53
	s_wait_alu 0xf1ff
	s_delay_alu instid0(VALU_DEP_2)
	v_add_co_ci_u32_e64 v54, s1, s3, v54, s1
	global_load_b128 v[53:56], v[53:54], off
.LBB0_42:
	s_wait_alu 0xfffe
	s_or_b32 exec_lo, exec_lo, s6
	v_mov_b32_e32 v59, 0
	v_mov_b32_e32 v60, 0
	v_or_b32_e32 v70, 0x70, v68
	s_delay_alu instid0(VALU_DEP_2)
	v_dual_mov_b32 v64, v60 :: v_dual_mov_b32 v63, v59
	v_dual_mov_b32 v62, v60 :: v_dual_mov_b32 v61, v59
	s_and_saveexec_b32 s6, s0
	s_cbranch_execz .LBB0_44
; %bb.43:
	v_mul_lo_u32 v57, s12, v70
	v_mov_b32_e32 v58, 0
	s_delay_alu instid0(VALU_DEP_2) | instskip(NEXT) | instid1(VALU_DEP_1)
	v_add3_u32 v57, s4, v65, v57
	v_lshlrev_b64_e32 v[57:58], 4, v[57:58]
	s_delay_alu instid0(VALU_DEP_1) | instskip(SKIP_1) | instid1(VALU_DEP_2)
	v_add_co_u32 v57, s1, s2, v57
	s_wait_alu 0xf1ff
	v_add_co_ci_u32_e64 v58, s1, s3, v58, s1
	global_load_b128 v[61:64], v[57:58], off
.LBB0_44:
	s_wait_alu 0xfffe
	s_or_b32 exec_lo, exec_lo, s6
	v_dual_mov_b32 v57, v59 :: v_dual_mov_b32 v58, v60
	s_and_saveexec_b32 s1, s0
	s_cbranch_execz .LBB0_46
; %bb.45:
	v_dual_mov_b32 v58, 0 :: v_dual_add_nc_u32 v57, 0x78, v68
	s_delay_alu instid0(VALU_DEP_1) | instskip(NEXT) | instid1(VALU_DEP_1)
	v_mul_lo_u32 v57, s12, v57
	v_add3_u32 v57, s4, v65, v57
	s_delay_alu instid0(VALU_DEP_1) | instskip(NEXT) | instid1(VALU_DEP_1)
	v_lshlrev_b64_e32 v[57:58], 4, v[57:58]
	v_add_co_u32 v57, s0, s2, v57
	s_wait_alu 0xf1ff
	s_delay_alu instid0(VALU_DEP_2)
	v_add_co_ci_u32_e64 v58, s0, s3, v58, s0
	global_load_b128 v[57:60], v[57:58], off
.LBB0_46:
	s_wait_alu 0xfffe
	s_or_b32 exec_lo, exec_lo, s1
	v_cmp_lt_u32_e64 s0, 0x7f, v0
	v_lshlrev_b32_e32 v71, 8, v68
	s_delay_alu instid0(VALU_DEP_2)
	s_and_saveexec_b32 s1, s0
	s_wait_alu 0xfffe
	s_xor_b32 s0, exec_lo, s1
; %bb.47:
	v_lshlrev_b32_e32 v71, 8, v68
                                        ; implicit-def: $vgpr3_vgpr4
                                        ; implicit-def: $vgpr7_vgpr8
                                        ; implicit-def: $vgpr15_vgpr16
                                        ; implicit-def: $vgpr11_vgpr12
                                        ; implicit-def: $vgpr19_vgpr20
                                        ; implicit-def: $vgpr23_vgpr24
                                        ; implicit-def: $vgpr31_vgpr32
                                        ; implicit-def: $vgpr27_vgpr28
                                        ; implicit-def: $vgpr35_vgpr36
                                        ; implicit-def: $vgpr39_vgpr40
                                        ; implicit-def: $vgpr47_vgpr48
                                        ; implicit-def: $vgpr43_vgpr44
                                        ; implicit-def: $vgpr51_vgpr52
                                        ; implicit-def: $vgpr55_vgpr56
                                        ; implicit-def: $vgpr63_vgpr64
                                        ; implicit-def: $vgpr59_vgpr60
; %bb.48:
	s_wait_alu 0xfffe
	s_or_saveexec_b32 s9, s0
	v_lshlrev_b32_e32 v72, 4, v72
	s_xor_b32 exec_lo, exec_lo, s9
	s_cbranch_execz .LBB0_50
; %bb.49:
	s_wait_loadcnt 0x0
	v_add_f64_e64 v[35:36], v[3:4], -v[35:36]
	v_add_f64_e64 v[49:50], v[17:18], -v[49:50]
	;; [unrolled: 1-line block ×16, first 2 shown]
	s_mov_b32 s0, 0x667f3bcd
	s_mov_b32 s1, 0x3fe6a09e
	;; [unrolled: 1-line block ×3, first 2 shown]
	s_wait_alu 0xfffe
	s_mov_b32 s6, s0
	s_mov_b32 s10, 0xcf328d46
	;; [unrolled: 1-line block ×6, first 2 shown]
	s_wait_alu 0xfffe
	s_mov_b32 s18, s14
	s_mov_b32 s21, 0xbfed906b
	;; [unrolled: 1-line block ×3, first 2 shown]
	v_fma_f64 v[3:4], v[3:4], 2.0, -v[35:36]
	v_add_f64_e64 v[73:74], v[35:36], -v[49:50]
	v_fma_f64 v[15:16], v[15:16], 2.0, -v[47:48]
	v_add_f64_e64 v[75:76], v[47:48], -v[61:62]
	v_fma_f64 v[29:30], v[29:30], 2.0, -v[61:62]
	v_add_f64_e32 v[77:78], v[45:46], v[63:64]
	v_fma_f64 v[31:32], v[31:32], 2.0, -v[63:64]
	v_add_f64_e64 v[79:80], v[39:40], -v[53:54]
	v_fma_f64 v[21:22], v[21:22], 2.0, -v[53:54]
	v_add_f64_e64 v[81:82], v[43:44], -v[57:58]
	v_fma_f64 v[9:10], v[9:10], 2.0, -v[41:42]
	v_add_f64_e32 v[83:84], v[41:42], v[59:60]
	v_fma_f64 v[5:6], v[5:6], 2.0, -v[37:38]
	v_add_f64_e32 v[85:86], v[37:38], v[55:56]
	;; [unrolled: 2-line block ×3, first 2 shown]
	v_fma_f64 v[19:20], v[19:20], 2.0, -v[51:52]
	v_fma_f64 v[13:14], v[13:14], 2.0, -v[45:46]
	;; [unrolled: 1-line block ×10, first 2 shown]
	v_fma_f64 v[49:50], v[75:76], s[0:1], v[73:74]
	v_fma_f64 v[45:46], v[45:46], 2.0, -v[77:78]
	v_add_f64_e64 v[31:32], v[15:16], -v[31:32]
	v_fma_f64 v[39:40], v[39:40], 2.0, -v[79:80]
	v_fma_f64 v[43:44], v[43:44], 2.0, -v[81:82]
	v_fma_f64 v[51:52], v[81:82], s[0:1], v[79:80]
	v_fma_f64 v[41:42], v[41:42], 2.0, -v[83:84]
	v_add_f64_e64 v[21:22], v[5:6], -v[21:22]
	v_fma_f64 v[37:38], v[37:38], 2.0, -v[85:86]
	v_add_f64_e64 v[25:26], v[9:10], -v[25:26]
	;; [unrolled: 2-line block ×3, first 2 shown]
	v_fma_f64 v[53:54], v[83:84], s[0:1], v[85:86]
	v_add_f64_e64 v[29:30], v[13:14], -v[29:30]
	v_add_f64_e64 v[23:24], v[7:8], -v[23:24]
	v_fma_f64 v[55:56], v[77:78], s[0:1], v[87:88]
	v_add_f64_e64 v[27:28], v[11:12], -v[27:28]
	v_add_f64_e64 v[17:18], v[0:1], -v[17:18]
	v_fma_f64 v[57:58], v[47:48], s[6:7], v[35:36]
	v_fma_f64 v[49:50], v[77:78], s[6:7], v[49:50]
	v_fma_f64 v[15:16], v[15:16], 2.0, -v[31:32]
	v_fma_f64 v[59:60], v[43:44], s[6:7], v[39:40]
	v_fma_f64 v[51:52], v[83:84], s[6:7], v[51:52]
	;; [unrolled: 1-line block ×3, first 2 shown]
	v_fma_f64 v[9:10], v[9:10], 2.0, -v[25:26]
	v_fma_f64 v[63:64], v[45:46], s[6:7], v[33:34]
	v_fma_f64 v[2:3], v[3:4], 2.0, -v[19:20]
	v_fma_f64 v[53:54], v[81:82], s[0:1], v[53:54]
	v_add_f64_e64 v[77:78], v[19:20], -v[29:30]
	v_add_f64_e64 v[25:26], v[23:24], -v[25:26]
	v_fma_f64 v[55:56], v[75:76], s[0:1], v[55:56]
	v_add_f64_e32 v[81:82], v[21:22], v[27:28]
	v_fma_f64 v[4:5], v[5:6], 2.0, -v[21:22]
	v_add_f64_e32 v[83:84], v[17:18], v[31:32]
	v_fma_f64 v[0:1], v[0:1], 2.0, -v[17:18]
	v_fma_f64 v[13:14], v[13:14], 2.0, -v[29:30]
	v_fma_f64 v[6:7], v[7:8], 2.0, -v[23:24]
	v_fma_f64 v[11:12], v[11:12], 2.0, -v[27:28]
	v_fma_f64 v[57:58], v[45:46], s[6:7], v[57:58]
	v_fma_f64 v[27:28], v[41:42], s[6:7], v[59:60]
	v_fma_f64 v[31:32], v[79:80], 2.0, -v[51:52]
	v_fma_f64 v[29:30], v[43:44], s[0:1], v[61:62]
	v_fma_f64 v[44:45], v[73:74], 2.0, -v[49:50]
	v_fma_f64 v[59:60], v[47:48], s[0:1], v[63:64]
	v_add_f64_e64 v[41:42], v[2:3], -v[15:16]
	v_fma_f64 v[15:16], v[85:86], 2.0, -v[53:54]
	v_fma_f64 v[61:62], v[19:20], 2.0, -v[77:78]
	;; [unrolled: 1-line block ×5, first 2 shown]
	v_add_f64_e64 v[8:9], v[4:5], -v[9:10]
	v_fma_f64 v[63:64], v[17:18], 2.0, -v[83:84]
	v_fma_f64 v[17:18], v[25:26], s[0:1], v[77:78]
	v_add_f64_e64 v[46:47], v[0:1], -v[13:14]
	v_fma_f64 v[21:22], v[81:82], s[0:1], v[83:84]
	v_add_f64_e64 v[12:13], v[6:7], -v[11:12]
	v_fma_f64 v[10:11], v[51:52], s[10:11], v[49:50]
	v_fma_f64 v[75:76], v[35:36], 2.0, -v[57:58]
	v_fma_f64 v[35:36], v[39:40], 2.0, -v[27:28]
	s_wait_alu 0xfffe
	v_fma_f64 v[39:40], v[27:28], s[18:19], v[57:58]
	v_fma_f64 v[37:38], v[37:38], 2.0, -v[29:30]
	v_fma_f64 v[87:88], v[31:32], s[14:15], v[44:45]
	v_fma_f64 v[79:80], v[33:34], 2.0, -v[59:60]
	v_fma_f64 v[33:34], v[53:54], s[10:11], v[55:56]
	v_fma_f64 v[85:86], v[29:30], s[18:19], v[59:60]
	v_fma_f64 v[95:96], v[2:3], 2.0, -v[41:42]
	v_fma_f64 v[89:90], v[23:24], s[6:7], v[61:62]
	;; [unrolled: 3-line block ×3, first 2 shown]
	v_fma_f64 v[99:100], v[0:1], 2.0, -v[46:47]
	v_fma_f64 v[4:5], v[25:26], s[0:1], v[21:22]
	v_fma_f64 v[97:98], v[6:7], 2.0, -v[12:13]
	v_fma_f64 v[6:7], v[81:82], s[6:7], v[17:18]
	v_fma_f64 v[2:3], v[53:54], s[14:15], v[10:11]
	v_add_f64_e64 v[10:11], v[41:42], -v[8:9]
	v_add_f64_e32 v[8:9], v[46:47], v[12:13]
	v_fma_f64 v[103:104], v[35:36], s[20:21], v[75:76]
	v_fma_f64 v[14:15], v[15:16], s[20:21], v[87:88]
	;; [unrolled: 1-line block ×9, first 2 shown]
	v_add_f64_e64 v[24:25], v[99:100], -v[101:102]
	v_add_f64_e64 v[26:27], v[95:96], -v[97:98]
	v_fma_f64 v[42:43], v[41:42], 2.0, -v[10:11]
	v_fma_f64 v[40:41], v[46:47], 2.0, -v[8:9]
	v_fma_f64 v[30:31], v[37:38], s[14:15], v[103:104]
	v_fma_f64 v[38:39], v[77:78], 2.0, -v[6:7]
	v_fma_f64 v[46:47], v[44:45], 2.0, -v[14:15]
	v_fma_f64 v[28:29], v[35:36], s[18:19], v[105:106]
	v_fma_f64 v[36:37], v[83:84], 2.0, -v[4:5]
	v_fma_f64 v[34:35], v[49:50], 2.0, -v[2:3]
	;; [unrolled: 1-line block ×9, first 2 shown]
	v_lshlrev_b32_e32 v64, 12, v68
	v_fma_f64 v[58:59], v[95:96], 2.0, -v[26:27]
	s_delay_alu instid0(VALU_DEP_2)
	v_add3_u32 v64, 0, v64, v72
	v_fma_f64 v[62:63], v[75:76], 2.0, -v[30:31]
	v_fma_f64 v[60:61], v[79:80], 2.0, -v[28:29]
	ds_store_b128 v64, v[36:39] offset:1536
	ds_store_b128 v64, v[32:35] offset:1792
	ds_store_b128 v64, v[16:19] offset:2560
	ds_store_b128 v64, v[12:15] offset:2816
	ds_store_b128 v64, v[8:11] offset:3072
	ds_store_b128 v64, v[20:23] offset:3328
	ds_store_b128 v64, v[48:51] offset:512
	ds_store_b128 v64, v[44:47] offset:768
	ds_store_b128 v64, v[40:43] offset:1024
	ds_store_b128 v64, v[52:55] offset:1280
	ds_store_b128 v64, v[24:27] offset:2048
	ds_store_b128 v64, v[28:31] offset:2304
	ds_store_b128 v64, v[56:59]
	ds_store_b128 v64, v[60:63] offset:256
	ds_store_b128 v64, v[4:7] offset:3584
	;; [unrolled: 1-line block ×3, first 2 shown]
.LBB0_50:
	s_or_b32 exec_lo, exec_lo, s9
	s_or_b32 s0, s8, vcc_lo
	global_wb scope:SCOPE_SE
	s_wait_loadcnt_dscnt 0x0
	s_barrier_signal -1
	s_barrier_wait -1
	global_inv scope:SCOPE_SE
	s_wait_alu 0xfffe
	s_and_saveexec_b32 s1, s0
	s_cbranch_execz .LBB0_52
; %bb.51:
	v_mul_u32_u24_e32 v0, 7, v68
	v_add3_u32 v58, 0, v71, v72
	v_or_b32_e32 v28, 0x60, v68
	v_mul_lo_u32 v64, v70, v67
	v_mul_lo_u32 v71, v69, v67
	v_lshlrev_b32_e32 v0, 4, v0
	v_mul_lo_u32 v29, v68, v67
	v_lshlrev_b32_e32 v113, 4, v67
	v_lshlrev_b32_e32 v103, 5, v67
	v_mul_lo_u32 v67, v28, v67
	s_clause 0x6
	global_load_b128 v[16:19], v0, s[16:17] offset:48
	global_load_b128 v[20:23], v0, s[16:17] offset:16
	;; [unrolled: 1-line block ×3, first 2 shown]
	global_load_b128 v[12:15], v0, s[16:17]
	global_load_b128 v[8:11], v0, s[16:17] offset:32
	global_load_b128 v[4:7], v0, s[16:17] offset:96
	;; [unrolled: 1-line block ×3, first 2 shown]
	ds_load_b128 v[30:33], v58 offset:16384
	ds_load_b128 v[34:37], v58 offset:8192
	;; [unrolled: 1-line block ×7, first 2 shown]
	ds_load_b128 v[58:61], v58
	v_lshrrev_b32_e32 v72, 2, v64
	v_lshrrev_b32_e32 v74, 2, v71
	v_sub_nc_u32_e32 v114, v67, v113
	v_and_b32_e32 v73, 63, v64
	v_lshrrev_b32_e32 v76, 2, v29
	v_and_b32_e32 v72, 0x3f0, v72
	v_and_b32_e32 v75, 63, v71
	;; [unrolled: 1-line block ×4, first 2 shown]
	s_add_co_i32 s0, 0, 0x8000
	v_sub_nc_u32_e32 v115, v114, v113
	v_lshrrev_b32_e32 v71, 8, v71
	v_lshl_add_u32 v73, v73, 4, 0
	v_and_b32_e32 v79, 0x3f0, v76
	v_lshl_add_u32 v75, v75, 4, 0
	v_lshl_add_u32 v101, v77, 4, 0
	v_lshrrev_b32_e32 v105, 8, v67
	s_wait_alu 0xfffe
	v_add_nc_u32_e32 v106, s0, v78
	v_lshrrev_b32_e32 v64, 8, v64
	v_sub_nc_u32_e32 v116, v115, v103
	v_and_b32_e32 v104, 0x3f0, v71
	v_add_nc_u32_e32 v112, s0, v79
	ds_load_b128 v[75:78], v75 offset:32768
	v_and_b32_e32 v64, 0x3f0, v64
	v_lshrrev_b32_e32 v111, 2, v67
	v_lshrrev_b32_e32 v117, 8, v115
	;; [unrolled: 1-line block ×3, first 2 shown]
	s_mov_b32 s7, 0xbfe6a09e
	s_delay_alu instid0(VALU_DEP_1) | instskip(NEXT) | instid1(VALU_DEP_1)
	v_and_b32_e32 v29, 0x3f0, v29
	v_add_nc_u32_e32 v29, s0, v29
	s_wait_loadcnt_dscnt 0x608
	v_mul_f64_e32 v[62:63], v[30:31], v[18:19]
	v_mul_f64_e32 v[18:19], v[32:33], v[18:19]
	s_wait_loadcnt_dscnt 0x507
	v_mul_f64_e32 v[83:84], v[36:37], v[22:23]
	v_mul_f64_e32 v[22:23], v[34:35], v[22:23]
	;; [unrolled: 3-line block ×4, first 2 shown]
	s_wait_loadcnt 0x2
	v_mul_f64_e32 v[91:92], v[38:39], v[10:11]
	v_mul_f64_e32 v[93:94], v[40:41], v[10:11]
	v_add_nc_u32_e32 v14, s0, v72
	ds_load_b128 v[71:74], v73 offset:32768
	s_wait_loadcnt 0x1
	v_mul_f64_e32 v[95:96], v[46:47], v[6:7]
	v_mul_f64_e32 v[97:98], v[48:49], v[6:7]
	v_and_b32_e32 v10, 0x3f0, v105
	ds_load_b128 v[79:82], v14 offset:1024
	s_wait_loadcnt 0x0
	v_mul_f64_e32 v[107:108], v[50:51], v[2:3]
	v_add_nc_u32_e32 v6, s0, v64
	v_add_nc_u32_e32 v7, s0, v104
	v_lshrrev_b32_e32 v64, 2, v115
	v_add_nc_u32_e32 v10, s0, v10
	s_wait_dscnt 0x0
	v_mul_f64_e32 v[109:110], v[73:74], v[81:82]
	v_mul_f64_e32 v[81:82], v[71:72], v[81:82]
	v_fma_f64 v[62:63], v[32:33], v[16:17], -v[62:63]
	v_fma_f64 v[99:100], v[30:31], v[16:17], v[18:19]
	ds_load_b128 v[14:17], v101 offset:32768
	ds_load_b64 v[101:102], v101 offset:32776
	ds_load_b128 v[30:33], v106 offset:1024
	v_mul_f64_e32 v[105:106], v[52:53], v[2:3]
	v_lshrrev_b32_e32 v2, 8, v116
	v_fma_f64 v[83:84], v[34:35], v[20:21], v[83:84]
	v_fma_f64 v[103:104], v[36:37], v[20:21], -v[22:23]
	ds_load_b128 v[18:21], v6 offset:2048
	ds_load_b128 v[34:37], v7 offset:2048
	v_and_b32_e32 v2, 0x3f0, v2
	v_and_b32_e32 v6, 0x3f0, v64
	v_fma_f64 v[85:86], v[42:43], v[24:25], v[85:86]
	v_fma_f64 v[26:27], v[44:45], v[24:25], -v[26:27]
	ds_load_b128 v[22:25], v10 offset:2048
	v_add_nc_u32_e32 v2, s0, v2
	v_fma_f64 v[54:55], v[54:55], v[12:13], v[87:88]
	v_fma_f64 v[56:57], v[56:57], v[12:13], -v[89:90]
	v_add_nc_u32_e32 v43, s0, v6
	v_fma_f64 v[87:88], v[40:41], v[8:9], -v[91:92]
	v_fma_f64 v[89:90], v[38:39], v[8:9], v[93:94]
	ds_load_b128 v[6:9], v2 offset:2048
	ds_load_b128 v[10:13], v112 offset:1024
	v_and_b32_e32 v3, 63, v115
	v_fma_f64 v[93:94], v[48:49], v[4:5], -v[95:96]
	v_fma_f64 v[95:96], v[46:47], v[4:5], v[97:98]
	s_wait_dscnt 0x5
	v_mul_f64_e32 v[91:92], v[77:78], v[32:33]
	v_and_b32_e32 v38, 0x3f0, v111
	v_lshl_add_u32 v3, v3, 4, 0
	ds_load_b64 v[97:98], v3 offset:32768
	ds_load_b128 v[2:5], v43 offset:1024
	v_and_b32_e32 v42, 63, v67
	v_lshrrev_b32_e32 v39, 2, v116
	v_and_b32_e32 v40, 63, v116
	v_mul_f64_e32 v[32:33], v[75:76], v[32:33]
	v_add_nc_u32_e32 v38, s0, v38
	v_lshl_add_u32 v41, v42, 4, 0
	v_and_b32_e32 v42, 0x3f0, v39
	v_lshl_add_u32 v46, v40, 4, 0
	s_wait_dscnt 0x2
	v_mul_f64_e32 v[111:112], v[14:15], v[12:13]
	v_mul_f64_e32 v[12:13], v[101:102], v[12:13]
	v_fma_f64 v[50:51], v[50:51], v[0:1], v[105:106]
	v_fma_f64 v[0:1], v[52:53], v[0:1], -v[107:108]
	ds_load_b64 v[52:53], v41 offset:32768
	ds_load_b128 v[38:41], v38 offset:1024
	v_fma_f64 v[71:72], v[71:72], v[79:80], -v[109:110]
	v_fma_f64 v[73:74], v[73:74], v[79:80], v[81:82]
	v_add_nc_u32_e32 v47, s0, v42
	ds_load_b128 v[42:45], v46 offset:32768
	ds_load_b64 v[105:106], v46 offset:32776
	v_sub_nc_u32_e32 v64, v116, v113
	v_and_b32_e32 v109, 63, v114
	s_wait_dscnt 0x4
	v_mul_f64_e32 v[79:80], v[97:98], v[4:5]
	v_mul_f64_e32 v[4:5], v[16:17], v[4:5]
	v_lshrrev_b32_e32 v81, 2, v114
	v_lshrrev_b32_e32 v67, 8, v64
	v_add_f64_e64 v[62:63], v[60:61], -v[62:63]
	v_add_f64_e64 v[99:100], v[58:59], -v[99:100]
	;; [unrolled: 1-line block ×4, first 2 shown]
	v_and_b32_e32 v113, 0x3f0, v81
	v_add_f64_e64 v[93:94], v[87:88], -v[93:94]
	v_add_f64_e64 v[95:96], v[89:90], -v[95:96]
	v_fma_f64 v[75:76], v[75:76], v[30:31], -v[91:92]
	v_and_b32_e32 v67, 0x3f0, v67
	s_wait_dscnt 0x2
	v_mul_f64_e32 v[81:82], v[52:53], v[40:41]
	ds_load_b128 v[46:49], v47 offset:1024
	s_wait_dscnt 0x2
	v_mul_f64_e32 v[40:41], v[44:45], v[40:41]
	v_add_nc_u32_e32 v67, s0, v67
	v_fma_f64 v[77:78], v[77:78], v[30:31], v[32:33]
	ds_load_b128 v[30:33], v67 offset:2048
	v_fma_f64 v[91:92], v[101:102], v[10:11], v[111:112]
	v_fma_f64 v[107:108], v[14:15], v[10:11], -v[12:13]
	v_add_f64_e64 v[50:51], v[54:55], -v[50:51]
	v_lshl_add_u32 v11, v109, 4, 0
	v_add_f64_e64 v[109:110], v[56:57], -v[0:1]
	v_lshrrev_b32_e32 v14, 8, v114
	v_and_b32_e32 v10, 63, v64
	v_lshrrev_b32_e32 v15, 2, v64
	ds_load_b64 v[111:112], v11 offset:32768
	v_add_nc_u32_e32 v0, s0, v113
	v_and_b32_e32 v14, 0x3f0, v14
	v_lshl_add_u32 v67, v10, 4, 0
	v_and_b32_e32 v15, 0x3f0, v15
	v_fma_f64 v[79:80], v[16:17], v[2:3], v[79:80]
	ds_load_b128 v[10:13], v0 offset:1024
	v_add_nc_u32_e32 v14, s0, v14
	v_fma_f64 v[4:5], v[97:98], v[2:3], -v[4:5]
	v_add_nc_u32_e32 v64, s0, v15
	v_fma_f64 v[60:61], v[60:61], 2.0, -v[62:63]
	v_fma_f64 v[58:59], v[58:59], 2.0, -v[99:100]
	ds_load_b128 v[14:17], v14 offset:2048
	ds_load_b128 v[0:3], v67 offset:32768
	v_fma_f64 v[103:104], v[103:104], 2.0, -v[26:27]
	v_fma_f64 v[89:90], v[89:90], 2.0, -v[95:96]
	;; [unrolled: 1-line block ×4, first 2 shown]
	s_wait_dscnt 0x5
	v_mul_f64_e32 v[101:102], v[105:106], v[48:49]
	v_mul_f64_e32 v[48:49], v[42:43], v[48:49]
	v_fma_f64 v[81:82], v[44:45], v[38:39], v[81:82]
	v_fma_f64 v[52:53], v[52:53], v[38:39], -v[40:41]
	ds_load_b128 v[38:41], v64 offset:1024
	v_add_f64_e32 v[26:27], v[99:100], v[26:27]
	v_add_f64_e64 v[85:86], v[62:63], -v[85:86]
	ds_load_b64 v[115:116], v67 offset:32776
	s_wait_dscnt 0x4
	v_mul_f64_e32 v[97:98], v[111:112], v[12:13]
	v_lshlrev_b64_e32 v[64:65], 4, v[65:66]
	v_fma_f64 v[54:55], v[54:55], 2.0, -v[50:51]
	s_wait_dscnt 0x2
	v_mul_f64_e32 v[12:13], v[2:3], v[12:13]
	v_fma_f64 v[56:57], v[56:57], 2.0, -v[109:110]
	v_add_f64_e32 v[113:114], v[50:51], v[93:94]
	v_add_f64_e64 v[93:94], v[109:110], -v[95:96]
	v_add_f64_e64 v[83:84], v[58:59], -v[83:84]
	v_fma_f64 v[101:102], v[42:43], v[46:47], -v[101:102]
	v_fma_f64 v[95:96], v[105:106], v[46:47], v[48:49]
	s_wait_dscnt 0x0
	v_mul_f64_e32 v[105:106], v[115:116], v[40:41]
	v_mul_f64_e32 v[40:41], v[0:1], v[40:41]
	v_and_b32_e32 v42, 0x3f0, v117
	v_fma_f64 v[99:100], v[99:100], 2.0, -v[26:27]
	v_fma_f64 v[62:63], v[62:63], 2.0, -v[85:86]
	v_fma_f64 v[2:3], v[2:3], v[10:11], v[97:98]
	v_add_f64_e64 v[97:98], v[60:61], -v[103:104]
	v_add_nc_u32_e32 v42, s0, v42
	ds_load_b128 v[42:45], v42 offset:2048
	ds_load_b128 v[46:49], v29 offset:2048
	v_add_f64_e64 v[89:90], v[54:55], -v[89:90]
	v_add_f64_e64 v[87:88], v[56:57], -v[87:88]
	v_fma_f64 v[12:13], v[111:112], v[10:11], -v[12:13]
	v_mul_f64_e32 v[10:11], v[73:74], v[20:21]
	v_fma_f64 v[50:51], v[50:51], 2.0, -v[113:114]
	v_fma_f64 v[103:104], v[109:110], 2.0, -v[93:94]
	v_mul_f64_e32 v[20:21], v[71:72], v[20:21]
	s_mov_b32 s0, 0x667f3bcd
	s_mov_b32 s1, 0x3fe6a09e
	s_wait_alu 0xfffe
	s_mov_b32 s6, s0
	v_fma_f64 v[109:110], v[93:94], s[0:1], v[85:86]
	v_fma_f64 v[58:59], v[58:59], 2.0, -v[83:84]
	v_fma_f64 v[0:1], v[0:1], v[38:39], -v[105:106]
	v_mul_f64_e32 v[105:106], v[77:78], v[36:37]
	v_mul_f64_e32 v[36:37], v[75:76], v[36:37]
	v_fma_f64 v[38:39], v[115:116], v[38:39], v[40:41]
	s_wait_dscnt 0x0
	v_mul_f64_e32 v[40:41], v[91:92], v[48:49]
	v_mul_f64_e32 v[48:49], v[107:108], v[48:49]
	v_or_b32_e32 v115, 16, v68
	v_fma_f64 v[60:61], v[60:61], 2.0, -v[97:98]
	v_or_b32_e32 v116, 32, v68
	s_delay_alu instid0(VALU_DEP_3)
	v_mad_co_u64_u32 v[66:67], null, s12, v115, 0
	v_fma_f64 v[54:55], v[54:55], 2.0, -v[89:90]
	v_fma_f64 v[56:57], v[56:57], 2.0, -v[87:88]
	v_add_f64_e32 v[87:88], v[83:84], v[87:88]
	v_fma_f64 v[10:11], v[18:19], v[71:72], -v[10:11]
	s_wait_alu 0xfffe
	v_fma_f64 v[71:72], v[50:51], s[6:7], v[99:100]
	v_fma_f64 v[111:112], v[103:104], s[6:7], v[62:63]
	;; [unrolled: 1-line block ×4, first 2 shown]
	v_mul_f64_e32 v[73:74], v[81:82], v[24:25]
	v_mul_f64_e32 v[24:25], v[52:53], v[24:25]
	v_add_f64_e64 v[89:90], v[97:98], -v[89:90]
	v_fma_f64 v[75:76], v[34:35], v[75:76], -v[105:106]
	v_fma_f64 v[34:35], v[34:35], v[77:78], v[36:37]
	v_mul_f64_e32 v[77:78], v[4:5], v[44:45]
	v_fma_f64 v[40:41], v[46:47], v[107:108], -v[40:41]
	v_fma_f64 v[107:108], v[113:114], s[6:7], v[109:110]
	v_mul_f64_e32 v[109:110], v[101:102], v[8:9]
	v_mul_f64_e32 v[105:106], v[12:13], v[16:17]
	v_mul_f64_e32 v[16:17], v[2:3], v[16:17]
	v_mad_co_u64_u32 v[36:37], null, s12, v69, 0
	v_fma_f64 v[46:47], v[46:47], v[91:92], v[48:49]
	v_mul_f64_e32 v[44:45], v[79:80], v[44:45]
	v_mul_f64_e32 v[8:9], v[95:96], v[8:9]
	v_add_f64_e64 v[54:55], v[58:59], -v[54:55]
	v_add_f64_e64 v[56:57], v[60:61], -v[56:57]
	v_mad_co_u64_u32 v[48:49], null, s12, v68, 0
	v_fma_f64 v[71:72], v[103:104], s[0:1], v[71:72]
	v_mul_f64_e32 v[103:104], v[0:1], v[32:33]
	v_fma_f64 v[50:51], v[50:51], s[6:7], v[111:112]
	v_fma_f64 v[20:21], v[93:94], s[0:1], v[20:21]
	s_lshl_b64 s[0:1], s[4:5], 4
	v_fma_f64 v[52:53], v[22:23], v[52:53], -v[73:74]
	s_wait_alu 0xfffe
	s_add_nc_u64 s[0:1], s[2:3], s[0:1]
	v_fma_f64 v[22:23], v[22:23], v[81:82], v[24:25]
	s_wait_alu 0xfffe
	v_add_co_u32 v117, vcc_lo, s0, v64
	v_mul_f64_e32 v[32:33], v[38:39], v[32:33]
	v_mov_b32_e32 v29, v37
	s_wait_alu 0xfffd
	v_add_co_ci_u32_e32 v118, vcc_lo, s1, v65, vcc_lo
	v_fma_f64 v[81:82], v[83:84], 2.0, -v[87:88]
	v_fma_f64 v[83:84], v[97:98], 2.0, -v[89:90]
	v_or_b32_e32 v113, 64, v68
	v_mad_co_u64_u32 v[73:74], null, s12, v116, 0
	v_or_b32_e32 v114, 0x50, v68
	v_mad_co_u64_u32 v[111:112], null, s12, v70, 0
	s_delay_alu instid0(VALU_DEP_4)
	v_mad_co_u64_u32 v[24:25], null, s12, v113, 0
	v_fma_f64 v[64:65], v[42:43], v[79:80], v[77:78]
	v_fma_f64 v[85:86], v[85:86], 2.0, -v[107:108]
	v_fma_f64 v[79:80], v[6:7], v[95:96], v[109:110]
	v_fma_f64 v[2:3], v[14:15], v[2:3], v[105:106]
	v_fma_f64 v[12:13], v[14:15], v[12:13], -v[16:17]
	v_mad_co_u64_u32 v[15:16], null, s13, v69, v[29:30]
	v_mov_b32_e32 v14, v49
	v_dual_mov_b32 v16, v67 :: v_dual_mov_b32 v17, v74
	v_fma_f64 v[58:59], v[58:59], 2.0, -v[54:55]
	v_fma_f64 v[60:61], v[60:61], 2.0, -v[56:57]
	v_fma_f64 v[42:43], v[42:43], v[4:5], -v[44:45]
	v_mad_co_u64_u32 v[67:68], null, s13, v68, v[14:15]
	v_fma_f64 v[37:38], v[30:31], v[38:39], v[103:104]
	v_fma_f64 v[91:92], v[99:100], 2.0, -v[71:72]
	v_fma_f64 v[62:63], v[62:63], 2.0, -v[50:51]
	;; [unrolled: 1-line block ×3, first 2 shown]
	v_mov_b32_e32 v14, v25
	v_mad_co_u64_u32 v[68:69], null, s13, v115, v[16:17]
	v_mad_co_u64_u32 v[16:17], null, s13, v116, v[17:18]
	v_fma_f64 v[29:30], v[30:31], v[0:1], -v[32:33]
	v_mul_f64_e32 v[0:1], v[20:21], v[18:19]
	v_mul_f64_e32 v[4:5], v[87:88], v[22:23]
	v_mul_f64_e32 v[22:23], v[89:90], v[22:23]
	v_mul_f64_e32 v[17:18], v[107:108], v[18:19]
	v_fma_f64 v[8:9], v[6:7], v[101:102], -v[8:9]
	v_mad_co_u64_u32 v[95:96], null, s13, v113, v[14:15]
	v_mov_b32_e32 v26, v112
	v_mad_co_u64_u32 v[77:78], null, s12, v114, 0
	v_dual_mov_b32 v49, v67 :: v_dual_mov_b32 v74, v16
	s_delay_alu instid0(VALU_DEP_3)
	v_mad_co_u64_u32 v[26:27], null, s13, v70, v[26:27]
	v_mul_f64_e32 v[96:97], v[54:55], v[64:65]
	v_mul_f64_e32 v[31:32], v[81:82], v[79:80]
	;; [unrolled: 1-line block ×6, first 2 shown]
	v_mad_co_u64_u32 v[69:70], null, s12, v28, 0
	v_mov_b32_e32 v14, v78
	v_mul_f64_e32 v[98:99], v[58:59], v[46:47]
	v_mul_f64_e32 v[46:47], v[60:61], v[46:47]
	v_dual_mov_b32 v112, v26 :: v_dual_mov_b32 v25, v95
	s_delay_alu instid0(VALU_DEP_4)
	v_mad_co_u64_u32 v[6:7], null, s13, v114, v[14:15]
	v_mul_f64_e32 v[100:101], v[91:92], v[37:38]
	v_mul_f64_e32 v[38:39], v[62:63], v[37:38]
	;; [unrolled: 1-line block ×4, first 2 shown]
	v_mov_b32_e32 v2, v70
	v_lshlrev_b64_e32 v[109:110], 4, v[111:112]
	v_mov_b32_e32 v78, v6
	v_lshlrev_b64_e32 v[111:112], 4, v[24:25]
	v_mov_b32_e32 v37, v15
	v_mad_co_u64_u32 v[2:3], null, s13, v28, v[2:3]
	v_fma_f64 v[6:7], v[89:90], v[52:53], -v[4:5]
	v_fma_f64 v[4:5], v[87:88], v[52:53], v[22:23]
	v_lshlrev_b64_e32 v[48:49], 4, v[48:49]
	v_lshlrev_b64_e32 v[35:36], 4, v[36:37]
	v_mov_b32_e32 v67, v68
	v_lshlrev_b64_e32 v[73:74], 4, v[73:74]
	v_mov_b32_e32 v70, v2
	v_fma_f64 v[2:3], v[107:108], v[10:11], -v[0:1]
	v_fma_f64 v[0:1], v[20:21], v[10:11], v[17:18]
	v_lshlrev_b64_e32 v[66:67], 4, v[66:67]
	v_lshlrev_b64_e32 v[77:78], 4, v[77:78]
	;; [unrolled: 1-line block ×3, first 2 shown]
	v_fma_f64 v[18:19], v[56:57], v[42:43], -v[96:97]
	v_fma_f64 v[10:11], v[83:84], v[8:9], -v[31:32]
	v_fma_f64 v[8:9], v[81:82], v[8:9], v[44:45]
	v_fma_f64 v[16:17], v[54:55], v[42:43], v[64:65]
	v_fma_f64 v[14:15], v[50:51], v[12:13], -v[79:80]
	v_fma_f64 v[12:13], v[71:72], v[12:13], v[104:105]
	v_add_co_u32 v32, vcc_lo, v117, v48
	v_fma_f64 v[22:23], v[60:61], v[40:41], -v[98:99]
	v_fma_f64 v[20:21], v[58:59], v[40:41], v[46:47]
	v_fma_f64 v[26:27], v[62:63], v[29:30], -v[100:101]
	v_fma_f64 v[24:25], v[91:92], v[29:30], v[38:39]
	v_fma_f64 v[30:31], v[85:86], v[75:76], -v[102:103]
	v_fma_f64 v[28:29], v[93:94], v[75:76], v[33:34]
	s_wait_alu 0xfffd
	v_add_co_ci_u32_e32 v33, vcc_lo, v118, v49, vcc_lo
	v_add_co_u32 v34, vcc_lo, v117, v35
	s_wait_alu 0xfffd
	v_add_co_ci_u32_e32 v35, vcc_lo, v118, v36, vcc_lo
	v_add_co_u32 v36, vcc_lo, v117, v109
	;; [unrolled: 3-line block ×7, first 2 shown]
	s_wait_alu 0xfffd
	v_add_co_ci_u32_e32 v47, vcc_lo, v118, v69, vcc_lo
	s_clause 0x7
	global_store_b128 v[32:33], v[20:23], off
	global_store_b128 v[38:39], v[24:27], off
	;; [unrolled: 1-line block ×8, first 2 shown]
.LBB0_52:
	s_nop 0
	s_sendmsg sendmsg(MSG_DEALLOC_VGPRS)
	s_endpgm
	.section	.rodata,"a",@progbits
	.p2align	6, 0x0
	.amdhsa_kernel fft_rtc_back_len128_factors_16_8_wgs_256_tpt_16_dp_ip_CI_sbcc_twdbase6_3step_dirReg_intrinsicRead
		.amdhsa_group_segment_fixed_size 0
		.amdhsa_private_segment_fixed_size 0
		.amdhsa_kernarg_size 96
		.amdhsa_user_sgpr_count 2
		.amdhsa_user_sgpr_dispatch_ptr 0
		.amdhsa_user_sgpr_queue_ptr 0
		.amdhsa_user_sgpr_kernarg_segment_ptr 1
		.amdhsa_user_sgpr_dispatch_id 0
		.amdhsa_user_sgpr_private_segment_size 0
		.amdhsa_wavefront_size32 1
		.amdhsa_uses_dynamic_stack 0
		.amdhsa_enable_private_segment 0
		.amdhsa_system_sgpr_workgroup_id_x 1
		.amdhsa_system_sgpr_workgroup_id_y 0
		.amdhsa_system_sgpr_workgroup_id_z 0
		.amdhsa_system_sgpr_workgroup_info 0
		.amdhsa_system_vgpr_workitem_id 0
		.amdhsa_next_free_vgpr 119
		.amdhsa_next_free_sgpr 49
		.amdhsa_reserve_vcc 1
		.amdhsa_float_round_mode_32 0
		.amdhsa_float_round_mode_16_64 0
		.amdhsa_float_denorm_mode_32 3
		.amdhsa_float_denorm_mode_16_64 3
		.amdhsa_fp16_overflow 0
		.amdhsa_workgroup_processor_mode 1
		.amdhsa_memory_ordered 1
		.amdhsa_forward_progress 0
		.amdhsa_round_robin_scheduling 0
		.amdhsa_exception_fp_ieee_invalid_op 0
		.amdhsa_exception_fp_denorm_src 0
		.amdhsa_exception_fp_ieee_div_zero 0
		.amdhsa_exception_fp_ieee_overflow 0
		.amdhsa_exception_fp_ieee_underflow 0
		.amdhsa_exception_fp_ieee_inexact 0
		.amdhsa_exception_int_div_zero 0
	.end_amdhsa_kernel
	.text
.Lfunc_end0:
	.size	fft_rtc_back_len128_factors_16_8_wgs_256_tpt_16_dp_ip_CI_sbcc_twdbase6_3step_dirReg_intrinsicRead, .Lfunc_end0-fft_rtc_back_len128_factors_16_8_wgs_256_tpt_16_dp_ip_CI_sbcc_twdbase6_3step_dirReg_intrinsicRead
                                        ; -- End function
	.section	.AMDGPU.csdata,"",@progbits
; Kernel info:
; codeLenInByte = 7272
; NumSgprs: 51
; NumVgprs: 119
; ScratchSize: 0
; MemoryBound: 0
; FloatMode: 240
; IeeeMode: 1
; LDSByteSize: 0 bytes/workgroup (compile time only)
; SGPRBlocks: 6
; VGPRBlocks: 14
; NumSGPRsForWavesPerEU: 51
; NumVGPRsForWavesPerEU: 119
; Occupancy: 12
; WaveLimiterHint : 1
; COMPUTE_PGM_RSRC2:SCRATCH_EN: 0
; COMPUTE_PGM_RSRC2:USER_SGPR: 2
; COMPUTE_PGM_RSRC2:TRAP_HANDLER: 0
; COMPUTE_PGM_RSRC2:TGID_X_EN: 1
; COMPUTE_PGM_RSRC2:TGID_Y_EN: 0
; COMPUTE_PGM_RSRC2:TGID_Z_EN: 0
; COMPUTE_PGM_RSRC2:TIDIG_COMP_CNT: 0
	.text
	.p2alignl 7, 3214868480
	.fill 96, 4, 3214868480
	.type	__hip_cuid_6fd6a8e332520417,@object ; @__hip_cuid_6fd6a8e332520417
	.section	.bss,"aw",@nobits
	.globl	__hip_cuid_6fd6a8e332520417
__hip_cuid_6fd6a8e332520417:
	.byte	0                               ; 0x0
	.size	__hip_cuid_6fd6a8e332520417, 1

	.ident	"AMD clang version 19.0.0git (https://github.com/RadeonOpenCompute/llvm-project roc-6.4.0 25133 c7fe45cf4b819c5991fe208aaa96edf142730f1d)"
	.section	".note.GNU-stack","",@progbits
	.addrsig
	.addrsig_sym __hip_cuid_6fd6a8e332520417
	.amdgpu_metadata
---
amdhsa.kernels:
  - .args:
      - .actual_access:  read_only
        .address_space:  global
        .offset:         0
        .size:           8
        .value_kind:     global_buffer
      - .address_space:  global
        .offset:         8
        .size:           8
        .value_kind:     global_buffer
      - .offset:         16
        .size:           8
        .value_kind:     by_value
      - .actual_access:  read_only
        .address_space:  global
        .offset:         24
        .size:           8
        .value_kind:     global_buffer
      - .actual_access:  read_only
        .address_space:  global
        .offset:         32
        .size:           8
        .value_kind:     global_buffer
      - .offset:         40
        .size:           8
        .value_kind:     by_value
      - .actual_access:  read_only
        .address_space:  global
        .offset:         48
        .size:           8
        .value_kind:     global_buffer
      - .actual_access:  read_only
        .address_space:  global
        .offset:         56
        .size:           8
        .value_kind:     global_buffer
      - .offset:         64
        .size:           4
        .value_kind:     by_value
      - .actual_access:  read_only
        .address_space:  global
        .offset:         72
        .size:           8
        .value_kind:     global_buffer
      - .actual_access:  read_only
        .address_space:  global
        .offset:         80
        .size:           8
        .value_kind:     global_buffer
      - .address_space:  global
        .offset:         88
        .size:           8
        .value_kind:     global_buffer
    .group_segment_fixed_size: 0
    .kernarg_segment_align: 8
    .kernarg_segment_size: 96
    .language:       OpenCL C
    .language_version:
      - 2
      - 0
    .max_flat_workgroup_size: 256
    .name:           fft_rtc_back_len128_factors_16_8_wgs_256_tpt_16_dp_ip_CI_sbcc_twdbase6_3step_dirReg_intrinsicRead
    .private_segment_fixed_size: 0
    .sgpr_count:     51
    .sgpr_spill_count: 0
    .symbol:         fft_rtc_back_len128_factors_16_8_wgs_256_tpt_16_dp_ip_CI_sbcc_twdbase6_3step_dirReg_intrinsicRead.kd
    .uniform_work_group_size: 1
    .uses_dynamic_stack: false
    .vgpr_count:     119
    .vgpr_spill_count: 0
    .wavefront_size: 32
    .workgroup_processor_mode: 1
amdhsa.target:   amdgcn-amd-amdhsa--gfx1201
amdhsa.version:
  - 1
  - 2
...

	.end_amdgpu_metadata
